;; amdgpu-corpus repo=ROCm/rocFFT kind=compiled arch=gfx1030 opt=O3
	.text
	.amdgcn_target "amdgcn-amd-amdhsa--gfx1030"
	.amdhsa_code_object_version 6
	.protected	fft_rtc_fwd_len1620_factors_10_3_3_6_3_wgs_162_tpt_162_halfLds_sp_ip_CI_sbrr_dirReg ; -- Begin function fft_rtc_fwd_len1620_factors_10_3_3_6_3_wgs_162_tpt_162_halfLds_sp_ip_CI_sbrr_dirReg
	.globl	fft_rtc_fwd_len1620_factors_10_3_3_6_3_wgs_162_tpt_162_halfLds_sp_ip_CI_sbrr_dirReg
	.p2align	8
	.type	fft_rtc_fwd_len1620_factors_10_3_3_6_3_wgs_162_tpt_162_halfLds_sp_ip_CI_sbrr_dirReg,@function
fft_rtc_fwd_len1620_factors_10_3_3_6_3_wgs_162_tpt_162_halfLds_sp_ip_CI_sbrr_dirReg: ; @fft_rtc_fwd_len1620_factors_10_3_3_6_3_wgs_162_tpt_162_halfLds_sp_ip_CI_sbrr_dirReg
; %bb.0:
	s_clause 0x2
	s_load_dwordx2 s[2:3], s[4:5], 0x18
	s_load_dwordx4 s[8:11], s[4:5], 0x0
	s_load_dwordx2 s[14:15], s[4:5], 0x50
	v_mul_u32_u24_e32 v1, 0x195, v0
	v_mov_b32_e32 v3, 0
	v_add_nc_u32_sdwa v5, s6, v1 dst_sel:DWORD dst_unused:UNUSED_PAD src0_sel:DWORD src1_sel:WORD_1
	v_mov_b32_e32 v1, 0
	v_mov_b32_e32 v6, v3
	v_mov_b32_e32 v2, 0
	s_waitcnt lgkmcnt(0)
	s_load_dwordx2 s[12:13], s[2:3], 0x0
	v_cmp_lt_u64_e64 s0, s[10:11], 2
	s_and_b32 vcc_lo, exec_lo, s0
	s_cbranch_vccnz .LBB0_8
; %bb.1:
	s_load_dwordx2 s[0:1], s[4:5], 0x10
	v_mov_b32_e32 v1, 0
	s_add_u32 s6, s2, 8
	v_mov_b32_e32 v2, 0
	s_addc_u32 s7, s3, 0
	s_mov_b64 s[18:19], 1
	s_waitcnt lgkmcnt(0)
	s_add_u32 s16, s0, 8
	s_addc_u32 s17, s1, 0
.LBB0_2:                                ; =>This Inner Loop Header: Depth=1
	s_load_dwordx2 s[20:21], s[16:17], 0x0
                                        ; implicit-def: $vgpr7_vgpr8
	s_mov_b32 s0, exec_lo
	s_waitcnt lgkmcnt(0)
	v_or_b32_e32 v4, s21, v6
	v_cmpx_ne_u64_e32 0, v[3:4]
	s_xor_b32 s1, exec_lo, s0
	s_cbranch_execz .LBB0_4
; %bb.3:                                ;   in Loop: Header=BB0_2 Depth=1
	v_cvt_f32_u32_e32 v4, s20
	v_cvt_f32_u32_e32 v7, s21
	s_sub_u32 s0, 0, s20
	s_subb_u32 s22, 0, s21
	v_fmac_f32_e32 v4, 0x4f800000, v7
	v_rcp_f32_e32 v4, v4
	v_mul_f32_e32 v4, 0x5f7ffffc, v4
	v_mul_f32_e32 v7, 0x2f800000, v4
	v_trunc_f32_e32 v7, v7
	v_fmac_f32_e32 v4, 0xcf800000, v7
	v_cvt_u32_f32_e32 v7, v7
	v_cvt_u32_f32_e32 v4, v4
	v_mul_lo_u32 v8, s0, v7
	v_mul_hi_u32 v9, s0, v4
	v_mul_lo_u32 v10, s22, v4
	v_add_nc_u32_e32 v8, v9, v8
	v_mul_lo_u32 v9, s0, v4
	v_add_nc_u32_e32 v8, v8, v10
	v_mul_hi_u32 v10, v4, v9
	v_mul_lo_u32 v11, v4, v8
	v_mul_hi_u32 v12, v4, v8
	v_mul_hi_u32 v13, v7, v9
	v_mul_lo_u32 v9, v7, v9
	v_mul_hi_u32 v14, v7, v8
	v_mul_lo_u32 v8, v7, v8
	v_add_co_u32 v10, vcc_lo, v10, v11
	v_add_co_ci_u32_e32 v11, vcc_lo, 0, v12, vcc_lo
	v_add_co_u32 v9, vcc_lo, v10, v9
	v_add_co_ci_u32_e32 v9, vcc_lo, v11, v13, vcc_lo
	v_add_co_ci_u32_e32 v10, vcc_lo, 0, v14, vcc_lo
	v_add_co_u32 v8, vcc_lo, v9, v8
	v_add_co_ci_u32_e32 v9, vcc_lo, 0, v10, vcc_lo
	v_add_co_u32 v4, vcc_lo, v4, v8
	v_add_co_ci_u32_e32 v7, vcc_lo, v7, v9, vcc_lo
	v_mul_hi_u32 v8, s0, v4
	v_mul_lo_u32 v10, s22, v4
	v_mul_lo_u32 v9, s0, v7
	v_add_nc_u32_e32 v8, v8, v9
	v_mul_lo_u32 v9, s0, v4
	v_add_nc_u32_e32 v8, v8, v10
	v_mul_hi_u32 v10, v4, v9
	v_mul_lo_u32 v11, v4, v8
	v_mul_hi_u32 v12, v4, v8
	v_mul_hi_u32 v13, v7, v9
	v_mul_lo_u32 v9, v7, v9
	v_mul_hi_u32 v14, v7, v8
	v_mul_lo_u32 v8, v7, v8
	v_add_co_u32 v10, vcc_lo, v10, v11
	v_add_co_ci_u32_e32 v11, vcc_lo, 0, v12, vcc_lo
	v_add_co_u32 v9, vcc_lo, v10, v9
	v_add_co_ci_u32_e32 v9, vcc_lo, v11, v13, vcc_lo
	v_add_co_ci_u32_e32 v10, vcc_lo, 0, v14, vcc_lo
	v_add_co_u32 v8, vcc_lo, v9, v8
	v_add_co_ci_u32_e32 v9, vcc_lo, 0, v10, vcc_lo
	v_add_co_u32 v4, vcc_lo, v4, v8
	v_add_co_ci_u32_e32 v11, vcc_lo, v7, v9, vcc_lo
	v_mul_hi_u32 v13, v5, v4
	v_mad_u64_u32 v[9:10], null, v6, v4, 0
	v_mad_u64_u32 v[7:8], null, v5, v11, 0
	;; [unrolled: 1-line block ×3, first 2 shown]
	v_add_co_u32 v4, vcc_lo, v13, v7
	v_add_co_ci_u32_e32 v7, vcc_lo, 0, v8, vcc_lo
	v_add_co_u32 v4, vcc_lo, v4, v9
	v_add_co_ci_u32_e32 v4, vcc_lo, v7, v10, vcc_lo
	v_add_co_ci_u32_e32 v7, vcc_lo, 0, v12, vcc_lo
	v_add_co_u32 v4, vcc_lo, v4, v11
	v_add_co_ci_u32_e32 v9, vcc_lo, 0, v7, vcc_lo
	v_mul_lo_u32 v10, s21, v4
	v_mad_u64_u32 v[7:8], null, s20, v4, 0
	v_mul_lo_u32 v11, s20, v9
	v_sub_co_u32 v7, vcc_lo, v5, v7
	v_add3_u32 v8, v8, v11, v10
	v_sub_nc_u32_e32 v10, v6, v8
	v_subrev_co_ci_u32_e64 v10, s0, s21, v10, vcc_lo
	v_add_co_u32 v11, s0, v4, 2
	v_add_co_ci_u32_e64 v12, s0, 0, v9, s0
	v_sub_co_u32 v13, s0, v7, s20
	v_sub_co_ci_u32_e32 v8, vcc_lo, v6, v8, vcc_lo
	v_subrev_co_ci_u32_e64 v10, s0, 0, v10, s0
	v_cmp_le_u32_e32 vcc_lo, s20, v13
	v_cmp_eq_u32_e64 s0, s21, v8
	v_cndmask_b32_e64 v13, 0, -1, vcc_lo
	v_cmp_le_u32_e32 vcc_lo, s21, v10
	v_cndmask_b32_e64 v14, 0, -1, vcc_lo
	v_cmp_le_u32_e32 vcc_lo, s20, v7
	;; [unrolled: 2-line block ×3, first 2 shown]
	v_cndmask_b32_e64 v15, 0, -1, vcc_lo
	v_cmp_eq_u32_e32 vcc_lo, s21, v10
	v_cndmask_b32_e64 v7, v15, v7, s0
	v_cndmask_b32_e32 v10, v14, v13, vcc_lo
	v_add_co_u32 v13, vcc_lo, v4, 1
	v_add_co_ci_u32_e32 v14, vcc_lo, 0, v9, vcc_lo
	v_cmp_ne_u32_e32 vcc_lo, 0, v10
	v_cndmask_b32_e32 v8, v14, v12, vcc_lo
	v_cndmask_b32_e32 v10, v13, v11, vcc_lo
	v_cmp_ne_u32_e32 vcc_lo, 0, v7
	v_cndmask_b32_e32 v8, v9, v8, vcc_lo
	v_cndmask_b32_e32 v7, v4, v10, vcc_lo
.LBB0_4:                                ;   in Loop: Header=BB0_2 Depth=1
	s_andn2_saveexec_b32 s0, s1
	s_cbranch_execz .LBB0_6
; %bb.5:                                ;   in Loop: Header=BB0_2 Depth=1
	v_cvt_f32_u32_e32 v4, s20
	s_sub_i32 s1, 0, s20
	v_rcp_iflag_f32_e32 v4, v4
	v_mul_f32_e32 v4, 0x4f7ffffe, v4
	v_cvt_u32_f32_e32 v4, v4
	v_mul_lo_u32 v7, s1, v4
	v_mul_hi_u32 v7, v4, v7
	v_add_nc_u32_e32 v4, v4, v7
	v_mul_hi_u32 v4, v5, v4
	v_mul_lo_u32 v7, v4, s20
	v_add_nc_u32_e32 v8, 1, v4
	v_sub_nc_u32_e32 v7, v5, v7
	v_subrev_nc_u32_e32 v9, s20, v7
	v_cmp_le_u32_e32 vcc_lo, s20, v7
	v_cndmask_b32_e32 v7, v7, v9, vcc_lo
	v_cndmask_b32_e32 v4, v4, v8, vcc_lo
	v_cmp_le_u32_e32 vcc_lo, s20, v7
	v_add_nc_u32_e32 v8, 1, v4
	v_cndmask_b32_e32 v7, v4, v8, vcc_lo
	v_mov_b32_e32 v8, v3
.LBB0_6:                                ;   in Loop: Header=BB0_2 Depth=1
	s_or_b32 exec_lo, exec_lo, s0
	s_load_dwordx2 s[0:1], s[6:7], 0x0
	v_mul_lo_u32 v4, v8, s20
	v_mul_lo_u32 v11, v7, s21
	v_mad_u64_u32 v[9:10], null, v7, s20, 0
	s_add_u32 s18, s18, 1
	s_addc_u32 s19, s19, 0
	s_add_u32 s6, s6, 8
	s_addc_u32 s7, s7, 0
	;; [unrolled: 2-line block ×3, first 2 shown]
	v_add3_u32 v4, v10, v11, v4
	v_sub_co_u32 v5, vcc_lo, v5, v9
	v_sub_co_ci_u32_e32 v4, vcc_lo, v6, v4, vcc_lo
	s_waitcnt lgkmcnt(0)
	v_mul_lo_u32 v6, s1, v5
	v_mul_lo_u32 v4, s0, v4
	v_mad_u64_u32 v[1:2], null, s0, v5, v[1:2]
	v_cmp_ge_u64_e64 s0, s[18:19], s[10:11]
	s_and_b32 vcc_lo, exec_lo, s0
	v_add3_u32 v2, v6, v2, v4
	s_cbranch_vccnz .LBB0_9
; %bb.7:                                ;   in Loop: Header=BB0_2 Depth=1
	v_mov_b32_e32 v5, v7
	v_mov_b32_e32 v6, v8
	s_branch .LBB0_2
.LBB0_8:
	v_mov_b32_e32 v8, v6
	v_mov_b32_e32 v7, v5
.LBB0_9:
	s_lshl_b64 s[0:1], s[10:11], 3
	v_mul_hi_u32 v3, 0x1948b10, v0
	s_add_u32 s0, s2, s0
	s_addc_u32 s1, s3, s1
                                        ; implicit-def: $vgpr33
                                        ; implicit-def: $vgpr34
                                        ; implicit-def: $vgpr30
	s_load_dwordx2 s[0:1], s[0:1], 0x0
	s_load_dwordx2 s[2:3], s[4:5], 0x20
	v_mul_u32_u24_e32 v3, 0xa2, v3
	v_sub_nc_u32_e32 v29, v0, v3
	v_add_nc_u32_e32 v31, 0xa2, v29
	v_add_nc_u32_e32 v32, 0x144, v29
	s_waitcnt lgkmcnt(0)
	v_mul_lo_u32 v4, s0, v8
	v_mul_lo_u32 v5, s1, v7
	v_mad_u64_u32 v[1:2], null, s0, v7, v[1:2]
	v_cmp_gt_u64_e32 vcc_lo, s[2:3], v[7:8]
	v_cmp_le_u64_e64 s0, s[2:3], v[7:8]
	v_add3_u32 v2, v5, v2, v4
	s_and_saveexec_b32 s1, s0
	s_xor_b32 s0, exec_lo, s1
; %bb.10:
	v_add_nc_u32_e32 v33, 0xa2, v29
	v_add_nc_u32_e32 v34, 0x144, v29
	;; [unrolled: 1-line block ×3, first 2 shown]
; %bb.11:
	s_or_saveexec_b32 s1, s0
	v_lshlrev_b64 v[0:1], 3, v[1:2]
                                        ; implicit-def: $vgpr12
                                        ; implicit-def: $vgpr26
                                        ; implicit-def: $vgpr14
                                        ; implicit-def: $vgpr24
                                        ; implicit-def: $vgpr16
                                        ; implicit-def: $vgpr28
                                        ; implicit-def: $vgpr8
                                        ; implicit-def: $vgpr10
                                        ; implicit-def: $vgpr6
                                        ; implicit-def: $vgpr4
	s_xor_b32 exec_lo, exec_lo, s1
	s_cbranch_execz .LBB0_13
; %bb.12:
	v_mad_u64_u32 v[2:3], null, s12, v29, 0
	v_mad_u64_u32 v[4:5], null, s12, v31, 0
	;; [unrolled: 1-line block ×3, first 2 shown]
	v_add_nc_u32_e32 v30, 0x1e6, v29
	v_add_nc_u32_e32 v14, 0x288, v29
	v_add_co_u32 v27, s0, s14, v0
	v_mad_u64_u32 v[8:9], null, s13, v29, v[3:4]
	v_mad_u64_u32 v[9:10], null, s13, v31, v[5:6]
	;; [unrolled: 1-line block ×3, first 2 shown]
	v_add_co_ci_u32_e64 v28, s0, s15, v1, s0
	v_mov_b32_e32 v3, v8
	v_add_nc_u32_e32 v25, 0x3cc, v29
	v_mov_b32_e32 v5, v9
	v_add_nc_u32_e32 v26, 0x46e, v29
	v_mov_b32_e32 v8, v11
	v_lshlrev_b64 v[2:3], 3, v[2:3]
	v_mad_u64_u32 v[20:21], null, s12, v25, 0
	v_lshlrev_b64 v[4:5], 3, v[4:5]
	v_mad_u64_u32 v[11:12], null, s13, v32, v[7:8]
	v_mad_u64_u32 v[8:9], null, s13, v30, v[8:9]
	;; [unrolled: 1-line block ×3, first 2 shown]
	v_add_co_u32 v2, s0, v27, v2
	v_mov_b32_e32 v7, v11
	v_add_co_ci_u32_e64 v3, s0, v28, v3, s0
	v_mov_b32_e32 v11, v8
	v_add_co_u32 v8, s0, v27, v4
	v_add_co_ci_u32_e64 v9, s0, v28, v5, s0
	v_lshlrev_b64 v[5:6], 3, v[6:7]
	v_mov_b32_e32 v4, v13
	v_add_nc_u32_e32 v7, 0x32a, v29
	v_lshlrev_b64 v[10:11], 3, v[10:11]
	v_mov_b32_e32 v34, v32
	v_mov_b32_e32 v33, v31
	v_mad_u64_u32 v[13:14], null, s13, v14, v[4:5]
	v_mad_u64_u32 v[14:15], null, s12, v7, 0
	v_add_co_u32 v16, s0, v27, v5
	v_add_co_ci_u32_e64 v17, s0, v28, v6, s0
	v_add_co_u32 v18, s0, v27, v10
	v_mov_b32_e32 v4, v15
	v_add_co_ci_u32_e64 v19, s0, v28, v11, s0
	v_lshlrev_b64 v[11:12], 3, v[12:13]
	v_mad_u64_u32 v[22:23], null, s13, v7, v[4:5]
	s_clause 0x3
	global_load_dwordx2 v[3:4], v[2:3], off
	global_load_dwordx2 v[5:6], v[8:9], off
	;; [unrolled: 1-line block ×4, first 2 shown]
	v_mad_u64_u32 v[23:24], null, s12, v26, 0
	v_mov_b32_e32 v2, v21
	v_add_nc_u32_e32 v19, 0x510, v29
	v_add_co_u32 v11, s0, v27, v11
	v_mov_b32_e32 v15, v22
	v_add_nc_u32_e32 v22, 0x5b2, v29
	v_add_co_ci_u32_e64 v12, s0, v28, v12, s0
	v_lshlrev_b64 v[13:14], 3, v[14:15]
	v_add_co_u32 v13, s0, v27, v13
	v_add_co_ci_u32_e64 v14, s0, v28, v14, s0
	s_waitcnt vmcnt(3)
	v_mad_u64_u32 v[16:17], null, s13, v25, v[2:3]
	v_mov_b32_e32 v2, v24
	v_mad_u64_u32 v[17:18], null, s12, v19, 0
	v_mad_u64_u32 v[24:25], null, s13, v26, v[2:3]
	;; [unrolled: 1-line block ×3, first 2 shown]
	v_mov_b32_e32 v2, v18
	v_mov_b32_e32 v21, v16
	v_mad_u64_u32 v[15:16], null, s13, v19, v[2:3]
	v_mov_b32_e32 v2, v26
	v_lshlrev_b64 v[19:20], 3, v[20:21]
	v_mad_u64_u32 v[21:22], null, s13, v22, v[2:3]
	v_mov_b32_e32 v18, v15
	v_lshlrev_b64 v[22:23], 3, v[23:24]
	v_add_co_u32 v19, s0, v27, v19
	v_add_co_ci_u32_e64 v20, s0, v28, v20, s0
	v_mov_b32_e32 v26, v21
	v_lshlrev_b64 v[15:16], 3, v[17:18]
	v_add_co_u32 v17, s0, v27, v22
	v_add_co_ci_u32_e64 v18, s0, v28, v23, s0
	v_lshlrev_b64 v[21:22], 3, v[25:26]
	v_add_co_u32 v25, s0, v27, v15
	v_add_co_ci_u32_e64 v26, s0, v28, v16, s0
	v_add_co_u32 v21, s0, v27, v21
	v_add_co_ci_u32_e64 v22, s0, v28, v22, s0
	s_clause 0x5
	global_load_dwordx2 v[27:28], v[11:12], off
	global_load_dwordx2 v[15:16], v[13:14], off
	;; [unrolled: 1-line block ×6, first 2 shown]
.LBB0_13:
	s_or_b32 exec_lo, exec_lo, s1
	s_waitcnt vmcnt(3)
	v_add_f32_e32 v2, v23, v27
	v_add_f32_e32 v17, v9, v3
	s_waitcnt vmcnt(1)
	v_sub_f32_e32 v18, v10, v26
	v_sub_f32_e32 v19, v28, v24
	;; [unrolled: 1-line block ×3, first 2 shown]
	v_fma_f32 v35, -0.5, v2, v3
	v_sub_f32_e32 v2, v9, v27
	v_add_f32_e32 v17, v27, v17
	v_add_f32_e32 v21, v25, v9
	s_waitcnt vmcnt(0)
	v_sub_f32_e32 v38, v11, v13
	v_fmamk_f32 v36, v18, 0x3f737871, v35
	v_fmac_f32_e32 v35, 0xbf737871, v18
	v_add_f32_e32 v2, v20, v2
	v_add_f32_e32 v17, v23, v17
	v_fmac_f32_e32 v3, -0.5, v21
	v_fmac_f32_e32 v36, 0x3f167918, v19
	v_fmac_f32_e32 v35, 0xbf167918, v19
	v_add_f32_e32 v21, v7, v5
	v_add_f32_e32 v22, v25, v17
	v_sub_f32_e32 v17, v23, v25
	v_fmac_f32_e32 v36, 0x3e9e377a, v2
	v_fmac_f32_e32 v35, 0x3e9e377a, v2
	v_sub_f32_e32 v2, v27, v9
	v_fmamk_f32 v37, v19, 0xbf737871, v3
	v_fmac_f32_e32 v3, 0x3f737871, v19
	v_add_f32_e32 v20, v13, v15
	v_sub_f32_e32 v19, v16, v14
	v_add_f32_e32 v2, v17, v2
	v_add_f32_e32 v17, v15, v21
	v_fmac_f32_e32 v37, 0x3f167918, v18
	v_fmac_f32_e32 v3, 0xbf167918, v18
	v_fma_f32 v41, -0.5, v20, v5
	v_sub_f32_e32 v20, v8, v12
	v_add_f32_e32 v17, v13, v17
	v_sub_f32_e32 v21, v7, v15
	v_add_f32_e32 v18, v11, v7
	v_fmac_f32_e32 v37, 0x3e9e377a, v2
	v_fmac_f32_e32 v3, 0x3e9e377a, v2
	v_add_f32_e32 v2, v11, v17
	v_add_f32_e32 v17, v14, v16
	v_fmamk_f32 v42, v20, 0x3f737871, v41
	v_add_f32_e32 v21, v38, v21
	v_fmac_f32_e32 v5, -0.5, v18
	v_fmac_f32_e32 v41, 0xbf737871, v20
	v_sub_f32_e32 v38, v13, v11
	v_fma_f32 v43, -0.5, v17, v6
	v_sub_f32_e32 v17, v7, v11
	v_add_f32_e32 v11, v12, v8
	v_fmac_f32_e32 v42, 0x3f167918, v19
	v_fmamk_f32 v44, v19, 0xbf737871, v5
	v_sub_f32_e32 v18, v15, v7
	v_fmac_f32_e32 v41, 0xbf167918, v19
	v_fmac_f32_e32 v5, 0x3f737871, v19
	v_sub_f32_e32 v13, v15, v13
	v_fma_f32 v45, -0.5, v11, v6
	v_fmac_f32_e32 v42, 0x3e9e377a, v21
	v_fmac_f32_e32 v44, 0x3f167918, v20
	v_add_f32_e32 v18, v38, v18
	v_fmamk_f32 v7, v17, 0xbf737871, v43
	v_fmac_f32_e32 v41, 0x3e9e377a, v21
	v_fmac_f32_e32 v5, 0xbf167918, v20
	v_sub_f32_e32 v15, v8, v16
	v_sub_f32_e32 v19, v12, v14
	v_fmac_f32_e32 v43, 0x3f737871, v17
	v_fmamk_f32 v11, v13, 0x3f737871, v45
	v_sub_f32_e32 v20, v16, v8
	v_sub_f32_e32 v21, v14, v12
	v_fmac_f32_e32 v45, 0xbf737871, v13
	v_fmac_f32_e32 v7, 0xbf167918, v13
	v_add_f32_e32 v15, v19, v15
	v_fmac_f32_e32 v43, 0x3f167918, v13
	v_fmac_f32_e32 v11, 0xbf167918, v17
	v_add_f32_e32 v13, v21, v20
	v_fmac_f32_e32 v5, 0x3e9e377a, v18
	v_fmac_f32_e32 v45, 0x3f167918, v17
	;; [unrolled: 1-line block ×5, first 2 shown]
	v_mul_f32_e32 v18, 0x3f4f1bbd, v41
	v_fmac_f32_e32 v45, 0x3e9e377a, v13
	v_mul_f32_e32 v13, 0x3e9e377a, v5
	v_mul_u32_u24_e32 v40, 10, v29
	v_fmac_f32_e32 v7, 0x3e9e377a, v15
	v_mul_f32_e32 v15, 0x3f4f1bbd, v42
	v_mul_f32_e32 v38, 0x3e9e377a, v44
	v_fma_f32 v13, 0x3f737871, v45, -v13
	v_fma_f32 v39, 0x3f167918, v43, -v18
	v_lshl_add_u32 v46, v40, 2, 0
	v_fmac_f32_e32 v15, 0x3f167918, v7
	v_fmac_f32_e32 v38, 0x3f737871, v11
	v_add_f32_e32 v17, v2, v22
	v_add_f32_e32 v20, v3, v13
	;; [unrolled: 1-line block ×3, first 2 shown]
	v_sub_f32_e32 v22, v22, v2
	v_sub_f32_e32 v2, v3, v13
	;; [unrolled: 1-line block ×3, first 2 shown]
	v_mad_i32_i24 v35, 0xffffffdc, v29, v46
	v_add_f32_e32 v18, v36, v15
	v_add_f32_e32 v19, v37, v38
	v_sub_f32_e32 v36, v36, v15
	v_sub_f32_e32 v37, v37, v38
	v_add_nc_u32_e32 v47, 0x800, v35
	v_add_nc_u32_e32 v48, 0xd00, v35
	;; [unrolled: 1-line block ×3, first 2 shown]
	ds_write2_b64 v46, v[17:18], v[19:20] offset1:1
	ds_write2_b64 v46, v[21:22], v[36:37] offset0:2 offset1:3
	ds_write_b64 v46, v[2:3] offset:32
	v_lshl_add_u32 v37, v33, 2, 0
	v_lshl_add_u32 v38, v34, 2, 0
	s_waitcnt lgkmcnt(0)
	s_barrier
	buffer_gl0_inv
	ds_read2_b32 v[19:20], v47 offset0:28 offset1:190
	ds_read2_b32 v[21:22], v48 offset0:32 offset1:248
	;; [unrolled: 1-line block ×3, first 2 shown]
	ds_read_b32 v39, v35
	ds_read_b32 v15, v37
	;; [unrolled: 1-line block ×3, first 2 shown]
	v_cmp_gt_u32_e64 s0, 54, v29
	v_lshl_add_u32 v36, v30, 2, 0
                                        ; implicit-def: $vgpr2
                                        ; implicit-def: $vgpr40
	s_and_saveexec_b32 s1, s0
	s_cbranch_execz .LBB0_15
; %bb.14:
	ds_read_b32 v40, v35 offset:4104
	ds_read_b32 v3, v36
	ds_read_b32 v2, v35 offset:6264
.LBB0_15:
	s_or_b32 exec_lo, exec_lo, s1
	v_add_f32_e32 v50, v10, v4
	v_add_f32_e32 v51, v24, v28
	v_add_f32_e32 v52, v26, v10
	v_sub_f32_e32 v23, v27, v23
	v_sub_f32_e32 v9, v9, v25
	v_add_f32_e32 v50, v28, v50
	v_fma_f32 v51, -0.5, v51, v4
	v_fmac_f32_e32 v4, -0.5, v52
	v_sub_f32_e32 v25, v10, v28
	v_sub_f32_e32 v53, v26, v24
	v_add_f32_e32 v27, v24, v50
	v_sub_f32_e32 v10, v28, v10
	v_fmamk_f32 v52, v23, 0x3f737871, v4
	v_sub_f32_e32 v24, v24, v26
	v_fmac_f32_e32 v4, 0xbf737871, v23
	v_add_f32_e32 v6, v8, v6
	v_fmamk_f32 v50, v9, 0xbf737871, v51
	v_fmac_f32_e32 v52, 0xbf167918, v9
	v_add_f32_e32 v8, v24, v10
	v_fmac_f32_e32 v4, 0x3f167918, v9
	v_add_f32_e32 v6, v16, v6
	;; [unrolled: 2-line block ×3, first 2 shown]
	v_fmac_f32_e32 v50, 0xbf167918, v23
	v_fmac_f32_e32 v52, 0x3e9e377a, v8
	;; [unrolled: 1-line block ×3, first 2 shown]
	v_add_f32_e32 v6, v14, v6
	v_mul_f32_e32 v14, 0xbf167918, v42
	v_mul_f32_e32 v16, 0xbf737871, v44
	;; [unrolled: 1-line block ×3, first 2 shown]
	v_fmac_f32_e32 v51, 0x3f167918, v23
	v_mul_f32_e32 v9, 0x3f4f1bbd, v43
	v_add_f32_e32 v27, v26, v27
	v_fmac_f32_e32 v50, 0x3e9e377a, v25
	v_add_f32_e32 v12, v12, v6
	v_fmac_f32_e32 v14, 0x3f4f1bbd, v7
	v_fmac_f32_e32 v16, 0x3e9e377a, v11
	v_fma_f32 v5, 0xbf737871, v5, -v8
	v_fmac_f32_e32 v51, 0x3e9e377a, v25
	v_fma_f32 v25, 0xbf167918, v41, -v9
	v_add_f32_e32 v6, v12, v27
	v_add_f32_e32 v7, v50, v14
	v_add_f32_e32 v8, v52, v16
	v_add_f32_e32 v9, v4, v5
	v_add_f32_e32 v10, v51, v25
	v_sub_f32_e32 v11, v27, v12
	v_sub_f32_e32 v23, v50, v14
	;; [unrolled: 1-line block ×5, first 2 shown]
	s_waitcnt lgkmcnt(0)
	s_barrier
	buffer_gl0_inv
	ds_write2_b64 v46, v[6:7], v[8:9] offset1:1
	ds_write2_b64 v46, v[10:11], v[23:24] offset0:2 offset1:3
	ds_write_b64 v46, v[4:5] offset:32
	s_waitcnt lgkmcnt(0)
	s_barrier
	buffer_gl0_inv
	ds_read2_b32 v[10:11], v47 offset0:28 offset1:190
	ds_read2_b32 v[6:7], v48 offset0:32 offset1:248
	;; [unrolled: 1-line block ×3, first 2 shown]
	ds_read_b32 v16, v35
	ds_read_b32 v14, v37
	ds_read_b32 v12, v38
                                        ; implicit-def: $vgpr4
                                        ; implicit-def: $vgpr24
	s_and_saveexec_b32 s1, s0
	s_cbranch_execz .LBB0_17
; %bb.16:
	ds_read_b32 v24, v35 offset:4104
	ds_read_b32 v5, v36
	ds_read_b32 v4, v35 offset:6264
.LBB0_17:
	s_or_b32 exec_lo, exec_lo, s1
	v_and_b32_e32 v23, 0xff, v29
	v_mov_b32_e32 v25, 0xcccd
	v_mov_b32_e32 v42, 4
	v_mul_lo_u16 v26, 0xcd, v23
	v_mul_u32_u24_sdwa v27, v33, v25 dst_sel:DWORD dst_unused:UNUSED_PAD src0_sel:WORD_0 src1_sel:DWORD
	v_lshrrev_b16 v28, 11, v26
	v_mul_u32_u24_sdwa v26, v34, v25 dst_sel:DWORD dst_unused:UNUSED_PAD src0_sel:WORD_0 src1_sel:DWORD
	v_lshrrev_b32_e32 v27, 19, v27
	v_mul_u32_u24_sdwa v25, v30, v25 dst_sel:DWORD dst_unused:UNUSED_PAD src0_sel:WORD_0 src1_sel:DWORD
	v_mul_lo_u16 v41, v28, 10
	v_lshrrev_b32_e32 v43, 19, v26
	v_mul_lo_u16 v26, v27, 10
	v_lshrrev_b32_e32 v46, 19, v25
	v_mul_u32_u24_e32 v27, 0x78, v27
	v_sub_nc_u16 v41, v29, v41
	v_mul_lo_u16 v44, v43, 10
	v_sub_nc_u16 v45, v33, v26
	v_lshlrev_b32_sdwa v26, v42, v41 dst_sel:DWORD dst_unused:UNUSED_PAD src0_sel:DWORD src1_sel:BYTE_0
	v_sub_nc_u16 v44, v34, v44
	v_lshlrev_b32_sdwa v25, v42, v45 dst_sel:DWORD dst_unused:UNUSED_PAD src0_sel:DWORD src1_sel:WORD_0
	global_load_dwordx4 v[50:53], v26, s[8:9]
	v_lshlrev_b32_sdwa v47, v42, v44 dst_sel:DWORD dst_unused:UNUSED_PAD src0_sel:DWORD src1_sel:WORD_0
	global_load_dwordx4 v[54:57], v25, s[8:9]
	v_mul_lo_u16 v26, v46, 10
	global_load_dwordx4 v[58:61], v47, s[8:9]
	v_sub_nc_u16 v26, v30, v26
	v_lshlrev_b32_sdwa v25, v42, v26 dst_sel:DWORD dst_unused:UNUSED_PAD src0_sel:DWORD src1_sel:WORD_0
	v_mov_b32_e32 v42, 0x78
	global_load_dwordx4 v[62:65], v25, s[8:9]
	v_mov_b32_e32 v25, 2
	v_mul_u32_u24_sdwa v42, v28, v42 dst_sel:DWORD dst_unused:UNUSED_PAD src0_sel:WORD_0 src1_sel:DWORD
	v_mul_u32_u24_e32 v47, 0x78, v43
	v_mul_lo_u16 v28, v46, 30
	s_waitcnt vmcnt(0) lgkmcnt(0)
	v_lshlrev_b32_sdwa v41, v25, v41 dst_sel:DWORD dst_unused:UNUSED_PAD src0_sel:DWORD src1_sel:BYTE_0
	v_lshlrev_b32_sdwa v44, v25, v44 dst_sel:DWORD dst_unused:UNUSED_PAD src0_sel:DWORD src1_sel:WORD_0
	v_lshlrev_b32_sdwa v45, v25, v45 dst_sel:DWORD dst_unused:UNUSED_PAD src0_sel:DWORD src1_sel:WORD_0
	s_barrier
	buffer_gl0_inv
	v_add3_u32 v43, 0, v42, v41
	v_add3_u32 v41, 0, v47, v44
	v_add3_u32 v42, 0, v27, v45
	v_mul_f32_e32 v48, v19, v51
	v_mul_f32_e32 v44, v22, v53
	;; [unrolled: 1-line block ×11, first 2 shown]
	v_fmac_f32_e32 v48, v10, v50
	v_fmac_f32_e32 v44, v7, v52
	v_mul_f32_e32 v27, v18, v61
	v_fma_f32 v51, v19, v50, -v46
	v_fma_f32 v53, v22, v52, -v66
	;; [unrolled: 1-line block ×4, first 2 shown]
	v_mul_f32_e32 v7, v24, v63
	v_mul_f32_e32 v10, v4, v65
	v_mul_f32_e32 v46, v40, v63
	v_mul_f32_e32 v19, v2, v65
	v_fma_f32 v17, v21, v58, -v57
	v_fma_f32 v20, v18, v60, -v59
	;; [unrolled: 1-line block ×4, first 2 shown]
	v_fmac_f32_e32 v46, v24, v62
	v_fmac_f32_e32 v19, v4, v64
	v_add_f32_e32 v4, v51, v53
	v_fmac_f32_e32 v49, v11, v54
	v_add_f32_e32 v40, v18, v21
	v_fmac_f32_e32 v47, v8, v56
	v_add_f32_e32 v8, v50, v52
	v_fmac_f32_e32 v45, v6, v58
	v_fmac_f32_e32 v27, v9, v60
	v_add_f32_e32 v11, v17, v20
	v_add_f32_e32 v2, v39, v51
	v_sub_f32_e32 v6, v48, v44
	v_add_f32_e32 v24, v3, v18
	v_sub_f32_e32 v54, v46, v19
	v_fmac_f32_e32 v39, -0.5, v4
	v_fmac_f32_e32 v3, -0.5, v40
	v_add_f32_e32 v7, v15, v50
	v_sub_f32_e32 v9, v49, v47
	v_fmac_f32_e32 v15, -0.5, v8
	v_add_f32_e32 v10, v13, v17
	v_sub_f32_e32 v22, v45, v27
	v_fmac_f32_e32 v13, -0.5, v11
	v_add_f32_e32 v55, v2, v53
	v_add_f32_e32 v2, v24, v21
	v_fmamk_f32 v8, v6, 0x3f5db3d7, v39
	v_fmamk_f32 v24, v54, 0x3f5db3d7, v3
	v_fmac_f32_e32 v3, 0xbf5db3d7, v54
	v_fmac_f32_e32 v39, 0xbf5db3d7, v6
	v_add_f32_e32 v4, v7, v52
	v_fmamk_f32 v6, v9, 0x3f5db3d7, v15
	v_fmac_f32_e32 v15, 0xbf5db3d7, v9
	v_add_f32_e32 v7, v10, v20
	v_fmamk_f32 v9, v22, 0x3f5db3d7, v13
	v_fmac_f32_e32 v13, 0xbf5db3d7, v22
	ds_write2_b32 v43, v55, v8 offset1:10
	ds_write_b32 v43, v39 offset:80
	ds_write2_b32 v42, v4, v6 offset1:10
	ds_write_b32 v42, v15 offset:80
	;; [unrolled: 2-line block ×3, first 2 shown]
	s_and_saveexec_b32 s1, s0
	s_cbranch_execz .LBB0_19
; %bb.18:
	v_lshlrev_b32_sdwa v4, v25, v26 dst_sel:DWORD dst_unused:UNUSED_PAD src0_sel:DWORD src1_sel:WORD_0
	v_lshlrev_b32_sdwa v6, v25, v28 dst_sel:DWORD dst_unused:UNUSED_PAD src0_sel:DWORD src1_sel:WORD_0
	v_add3_u32 v4, 0, v4, v6
	ds_write2_b32 v4, v2, v24 offset1:10
	ds_write_b32 v4, v3 offset:80
.LBB0_19:
	s_or_b32 exec_lo, exec_lo, s1
	v_add_nc_u32_e32 v4, 0x800, v35
	v_add_nc_u32_e32 v6, 0xd00, v35
	;; [unrolled: 1-line block ×3, first 2 shown]
	s_waitcnt lgkmcnt(0)
	s_barrier
	buffer_gl0_inv
	ds_read2_b32 v[10:11], v4 offset0:28 offset1:190
	ds_read2_b32 v[8:9], v6 offset0:32 offset1:248
	;; [unrolled: 1-line block ×3, first 2 shown]
	ds_read_b32 v25, v35
	ds_read_b32 v22, v37
	;; [unrolled: 1-line block ×3, first 2 shown]
	s_and_saveexec_b32 s1, s0
	s_cbranch_execz .LBB0_21
; %bb.20:
	ds_read_b32 v24, v35 offset:4104
	ds_read_b32 v2, v36
	ds_read_b32 v3, v35 offset:6264
.LBB0_21:
	s_or_b32 exec_lo, exec_lo, s1
	v_add_f32_e32 v13, v48, v44
	v_add_f32_e32 v15, v16, v48
	v_sub_f32_e32 v39, v51, v53
	v_add_f32_e32 v40, v49, v47
	v_sub_f32_e32 v17, v17, v20
	v_fmac_f32_e32 v16, -0.5, v13
	v_add_f32_e32 v13, v14, v49
	v_add_f32_e32 v20, v5, v46
	v_fmac_f32_e32 v14, -0.5, v40
	v_sub_f32_e32 v21, v18, v21
	v_fmamk_f32 v40, v39, 0xbf5db3d7, v16
	v_add_f32_e32 v13, v13, v47
	v_add_f32_e32 v47, v46, v19
	v_fmac_f32_e32 v16, 0x3f5db3d7, v39
	v_add_f32_e32 v39, v45, v27
	v_add_f32_e32 v45, v12, v45
	v_sub_f32_e32 v48, v50, v52
	v_fmac_f32_e32 v5, -0.5, v47
	v_add_f32_e32 v15, v15, v44
	v_fmac_f32_e32 v12, -0.5, v39
	v_add_f32_e32 v39, v45, v27
	v_add_f32_e32 v18, v20, v19
	v_fmamk_f32 v27, v21, 0xbf5db3d7, v5
	v_fmac_f32_e32 v5, 0x3f5db3d7, v21
	v_fmamk_f32 v44, v48, 0xbf5db3d7, v14
	v_fmac_f32_e32 v14, 0x3f5db3d7, v48
	v_fmamk_f32 v45, v17, 0xbf5db3d7, v12
	v_fmac_f32_e32 v12, 0x3f5db3d7, v17
	s_waitcnt lgkmcnt(0)
	s_barrier
	buffer_gl0_inv
	ds_write2_b32 v43, v15, v40 offset1:10
	ds_write_b32 v43, v16 offset:80
	ds_write2_b32 v42, v13, v44 offset1:10
	ds_write_b32 v42, v14 offset:80
	;; [unrolled: 2-line block ×3, first 2 shown]
	s_and_saveexec_b32 s1, s0
	s_cbranch_execz .LBB0_23
; %bb.22:
	v_mov_b32_e32 v12, 2
	v_lshlrev_b32_sdwa v13, v12, v26 dst_sel:DWORD dst_unused:UNUSED_PAD src0_sel:DWORD src1_sel:WORD_0
	v_lshlrev_b32_sdwa v12, v12, v28 dst_sel:DWORD dst_unused:UNUSED_PAD src0_sel:DWORD src1_sel:WORD_0
	v_add3_u32 v12, 0, v13, v12
	ds_write2_b32 v12, v18, v27 offset1:10
	ds_write_b32 v12, v5 offset:80
.LBB0_23:
	s_or_b32 exec_lo, exec_lo, s1
	v_add_nc_u32_e32 v12, 0x800, v35
	v_add_nc_u32_e32 v13, 0xd00, v35
	;; [unrolled: 1-line block ×3, first 2 shown]
	s_waitcnt lgkmcnt(0)
	s_barrier
	buffer_gl0_inv
	ds_read2_b32 v[16:17], v12 offset0:28 offset1:190
	ds_read2_b32 v[14:15], v13 offset0:32 offset1:248
	;; [unrolled: 1-line block ×3, first 2 shown]
	ds_read_b32 v21, v35
	ds_read_b32 v20, v37
	;; [unrolled: 1-line block ×3, first 2 shown]
	s_and_saveexec_b32 s1, s0
	s_cbranch_execz .LBB0_25
; %bb.24:
	ds_read_b32 v27, v35 offset:4104
	ds_read_b32 v18, v36
	ds_read_b32 v5, v35 offset:6264
.LBB0_25:
	s_or_b32 exec_lo, exec_lo, s1
	v_mul_lo_u16 v23, 0x89, v23
	v_mov_b32_e32 v26, 0x8889
	v_mov_b32_e32 v40, 4
	;; [unrolled: 1-line block ×3, first 2 shown]
	v_lshrrev_b16 v23, 12, v23
	v_mul_u32_u24_sdwa v28, v33, v26 dst_sel:DWORD dst_unused:UNUSED_PAD src0_sel:WORD_0 src1_sel:DWORD
	v_mul_u32_u24_sdwa v41, v34, v26 dst_sel:DWORD dst_unused:UNUSED_PAD src0_sel:WORD_0 src1_sel:DWORD
	;; [unrolled: 1-line block ×3, first 2 shown]
	v_mul_lo_u16 v39, v23, 30
	v_lshrrev_b32_e32 v28, 20, v28
	v_lshrrev_b32_e32 v41, 20, v41
	;; [unrolled: 1-line block ×3, first 2 shown]
	v_sub_nc_u16 v39, v29, v39
	v_mul_lo_u16 v42, v28, 30
	v_mul_lo_u16 v26, v41, 30
	;; [unrolled: 1-line block ×3, first 2 shown]
	v_mul_u32_u24_e32 v41, 0x168, v41
	v_lshlrev_b32_sdwa v43, v40, v39 dst_sel:DWORD dst_unused:UNUSED_PAD src0_sel:DWORD src1_sel:BYTE_0
	v_sub_nc_u16 v42, v33, v42
	v_sub_nc_u16 v49, v34, v26
	v_sub_nc_u16 v26, v30, v48
	v_lshlrev_b32_sdwa v39, v52, v39 dst_sel:DWORD dst_unused:UNUSED_PAD src0_sel:DWORD src1_sel:BYTE_0
	global_load_dwordx4 v[43:46], v43, s[8:9] offset:160
	v_lshlrev_b32_sdwa v50, v40, v42 dst_sel:DWORD dst_unused:UNUSED_PAD src0_sel:DWORD src1_sel:WORD_0
	v_lshlrev_b32_sdwa v48, v40, v49 dst_sel:DWORD dst_unused:UNUSED_PAD src0_sel:DWORD src1_sel:WORD_0
	;; [unrolled: 1-line block ×3, first 2 shown]
	s_clause 0x2
	global_load_dwordx4 v[53:56], v50, s[8:9] offset:160
	global_load_dwordx4 v[57:60], v48, s[8:9] offset:160
	;; [unrolled: 1-line block ×3, first 2 shown]
	v_mov_b32_e32 v40, 0x168
	s_waitcnt vmcnt(0) lgkmcnt(0)
	s_barrier
	buffer_gl0_inv
	v_mul_u32_u24_sdwa v23, v23, v40 dst_sel:DWORD dst_unused:UNUSED_PAD src0_sel:WORD_0 src1_sel:DWORD
	v_mul_u32_u24_e32 v40, 0x168, v28
	v_mul_lo_u16 v28, 0x5a, v47
	v_add3_u32 v39, 0, v23, v39
	v_lshlrev_b32_sdwa v23, v52, v42 dst_sel:DWORD dst_unused:UNUSED_PAD src0_sel:DWORD src1_sel:WORD_0
	v_lshlrev_b32_sdwa v42, v52, v49 dst_sel:DWORD dst_unused:UNUSED_PAD src0_sel:DWORD src1_sel:WORD_0
	v_add3_u32 v40, 0, v40, v23
	v_add3_u32 v41, 0, v41, v42
	v_mul_f32_e32 v23, v16, v44
	v_mul_f32_e32 v47, v10, v44
	;; [unrolled: 1-line block ×4, first 2 shown]
	v_fma_f32 v48, v10, v43, -v23
	v_fmac_f32_e32 v47, v16, v43
	v_fma_f32 v49, v9, v45, -v49
	v_fmac_f32_e32 v44, v15, v45
	v_mul_f32_e32 v9, v17, v54
	v_mul_f32_e32 v46, v11, v54
	;; [unrolled: 1-line block ×12, first 2 shown]
	v_fma_f32 v50, v11, v53, -v9
	v_fmac_f32_e32 v46, v17, v53
	v_fma_f32 v51, v6, v55, -v15
	v_fmac_f32_e32 v45, v12, v55
	v_fma_f32 v11, v8, v57, -v16
	v_fma_f32 v17, v7, v59, -v54
	;; [unrolled: 1-line block ×3, first 2 shown]
	v_add_f32_e32 v7, v48, v49
	v_fma_f32 v24, v3, v63, -v58
	v_fmac_f32_e32 v23, v14, v57
	v_fmac_f32_e32 v10, v13, v59
	;; [unrolled: 1-line block ×3, first 2 shown]
	v_add_f32_e32 v6, v25, v48
	v_fmac_f32_e32 v42, v5, v63
	v_fmac_f32_e32 v25, -0.5, v7
	v_add_f32_e32 v7, v50, v51
	v_add_f32_e32 v13, v11, v17
	;; [unrolled: 1-line block ×3, first 2 shown]
	v_sub_f32_e32 v3, v47, v44
	v_add_f32_e32 v5, v6, v49
	v_add_f32_e32 v6, v22, v50
	v_sub_f32_e32 v8, v46, v45
	v_add_f32_e32 v9, v4, v11
	v_sub_f32_e32 v14, v23, v10
	;; [unrolled: 2-line block ×3, first 2 shown]
	v_fmac_f32_e32 v22, -0.5, v7
	v_fmac_f32_e32 v4, -0.5, v13
	v_fmac_f32_e32 v2, -0.5, v16
	v_fmamk_f32 v53, v3, 0x3f5db3d7, v25
	v_fmac_f32_e32 v25, 0xbf5db3d7, v3
	v_add_f32_e32 v54, v6, v51
	v_add_f32_e32 v3, v9, v17
	;; [unrolled: 1-line block ×3, first 2 shown]
	v_fmamk_f32 v9, v8, 0x3f5db3d7, v22
	v_fmac_f32_e32 v22, 0xbf5db3d7, v8
	v_fmamk_f32 v8, v14, 0x3f5db3d7, v4
	v_fmac_f32_e32 v4, 0xbf5db3d7, v14
	;; [unrolled: 2-line block ×3, first 2 shown]
	ds_write2_b32 v39, v5, v53 offset1:30
	ds_write_b32 v39, v25 offset:240
	ds_write2_b32 v40, v54, v9 offset1:30
	ds_write_b32 v40, v22 offset:240
	;; [unrolled: 2-line block ×3, first 2 shown]
	s_and_saveexec_b32 s1, s0
	s_cbranch_execz .LBB0_27
; %bb.26:
	v_lshlrev_b32_sdwa v5, v52, v26 dst_sel:DWORD dst_unused:UNUSED_PAD src0_sel:DWORD src1_sel:WORD_0
	v_lshlrev_b32_sdwa v9, v52, v28 dst_sel:DWORD dst_unused:UNUSED_PAD src0_sel:DWORD src1_sel:WORD_0
	v_add3_u32 v5, 0, v5, v9
	ds_write2_b32 v5, v6, v7 offset1:30
	ds_write_b32 v5, v2 offset:240
.LBB0_27:
	s_or_b32 exec_lo, exec_lo, s1
	s_waitcnt lgkmcnt(0)
	s_barrier
	buffer_gl0_inv
	ds_read_b32 v5, v35
	ds_read_b32 v16, v35 offset:1080
	ds_read_b32 v15, v35 offset:2160
	;; [unrolled: 1-line block ×5, first 2 shown]
	v_cmp_gt_u32_e64 s1, 0x6c, v29
	s_and_saveexec_b32 s2, s1
	s_cbranch_execz .LBB0_29
; %bb.28:
	ds_read_b32 v8, v35 offset:1728
	ds_read_b32 v4, v35 offset:2808
	;; [unrolled: 1-line block ×4, first 2 shown]
	ds_read_b32 v3, v37
	ds_read_b32 v2, v35 offset:6048
.LBB0_29:
	s_or_b32 exec_lo, exec_lo, s2
	v_add_f32_e32 v22, v47, v44
	v_add_f32_e32 v25, v21, v47
	;; [unrolled: 1-line block ×3, first 2 shown]
	v_sub_f32_e32 v27, v48, v49
	v_sub_f32_e32 v11, v11, v17
	v_fmac_f32_e32 v21, -0.5, v22
	v_add_f32_e32 v22, v20, v46
	v_sub_f32_e32 v46, v50, v51
	v_fmac_f32_e32 v20, -0.5, v47
	v_add_f32_e32 v25, v25, v44
	v_fmamk_f32 v44, v27, 0xbf5db3d7, v21
	v_fmac_f32_e32 v21, 0x3f5db3d7, v27
	v_add_f32_e32 v27, v22, v45
	v_add_f32_e32 v22, v23, v10
	v_fmamk_f32 v45, v46, 0xbf5db3d7, v20
	v_fmac_f32_e32 v20, 0x3f5db3d7, v46
	v_add_f32_e32 v46, v43, v42
	v_add_f32_e32 v23, v19, v23
	v_fmac_f32_e32 v19, -0.5, v22
	v_add_f32_e32 v17, v18, v43
	v_sub_f32_e32 v12, v12, v24
	v_fmac_f32_e32 v18, -0.5, v46
	v_add_f32_e32 v10, v23, v10
	v_fmamk_f32 v23, v11, 0xbf5db3d7, v19
	v_fmac_f32_e32 v19, 0x3f5db3d7, v11
	v_add_f32_e32 v22, v17, v42
	v_fmamk_f32 v17, v12, 0xbf5db3d7, v18
	v_fmac_f32_e32 v18, 0x3f5db3d7, v12
	s_waitcnt lgkmcnt(0)
	s_barrier
	buffer_gl0_inv
	ds_write2_b32 v39, v25, v44 offset1:30
	ds_write_b32 v39, v21 offset:240
	ds_write2_b32 v40, v27, v45 offset1:30
	ds_write_b32 v40, v20 offset:240
	;; [unrolled: 2-line block ×3, first 2 shown]
	s_and_saveexec_b32 s2, s0
	s_cbranch_execz .LBB0_31
; %bb.30:
	v_mov_b32_e32 v11, 2
	v_lshlrev_b32_sdwa v12, v11, v26 dst_sel:DWORD dst_unused:UNUSED_PAD src0_sel:DWORD src1_sel:WORD_0
	v_lshlrev_b32_sdwa v11, v11, v28 dst_sel:DWORD dst_unused:UNUSED_PAD src0_sel:DWORD src1_sel:WORD_0
	v_add3_u32 v11, 0, v12, v11
	ds_write2_b32 v11, v22, v17 offset1:30
	ds_write_b32 v11, v18 offset:240
.LBB0_31:
	s_or_b32 exec_lo, exec_lo, s2
	s_waitcnt lgkmcnt(0)
	s_barrier
	buffer_gl0_inv
	ds_read_b32 v11, v35
	ds_read_b32 v27, v35 offset:1080
	ds_read_b32 v26, v35 offset:2160
	;; [unrolled: 1-line block ×5, first 2 shown]
	s_and_saveexec_b32 s2, s1
	s_cbranch_execz .LBB0_33
; %bb.32:
	ds_read_b32 v23, v35 offset:1728
	ds_read_b32 v19, v35 offset:2808
	;; [unrolled: 1-line block ×4, first 2 shown]
	ds_read_b32 v10, v37
	ds_read_b32 v18, v35 offset:6048
.LBB0_33:
	s_or_b32 exec_lo, exec_lo, s2
	v_add_nc_u32_e32 v12, 0xffffffa6, v29
	v_cmp_gt_u32_e64 s2, 0x5a, v29
	v_mov_b32_e32 v40, 0
	v_mov_b32_e32 v28, 5
	v_cndmask_b32_e64 v25, v12, v29, s2
	v_mov_b32_e32 v12, 0x2d83
	v_mul_i32_i24_e32 v39, 5, v25
	v_mul_u32_u24_sdwa v12, v33, v12 dst_sel:DWORD dst_unused:UNUSED_PAD src0_sel:WORD_0 src1_sel:DWORD
	v_lshlrev_b32_e32 v25, 2, v25
	v_lshlrev_b64 v[39:40], 3, v[39:40]
	v_lshrrev_b32_e32 v64, 20, v12
	v_mul_lo_u16 v12, 0x5a, v64
	v_add_co_u32 v39, s2, s8, v39
	v_add_co_ci_u32_e64 v40, s2, s9, v40, s2
	v_sub_nc_u16 v12, v33, v12
	v_cmp_lt_u32_e64 s2, 0x59, v29
	s_clause 0x1
	global_load_dwordx4 v[44:47], v[39:40], off offset:640
	global_load_dwordx4 v[48:51], v[39:40], off offset:656
	v_mul_u32_u24_sdwa v28, v12, v28 dst_sel:DWORD dst_unused:UNUSED_PAD src0_sel:WORD_0 src1_sel:DWORD
	global_load_dwordx2 v[60:61], v[39:40], off offset:672
	v_lshlrev_b32_e32 v28, 3, v28
	s_clause 0x2
	global_load_dwordx4 v[52:55], v28, s[8:9] offset:640
	global_load_dwordx4 v[56:59], v28, s[8:9] offset:656
	global_load_dwordx2 v[62:63], v28, s[8:9] offset:672
	v_cndmask_b32_e64 v28, 0, 0x870, s2
	s_waitcnt vmcnt(0) lgkmcnt(0)
	s_barrier
	buffer_gl0_inv
	v_add3_u32 v25, 0, v28, v25
	v_add_nc_u32_e32 v65, 0x200, v25
	v_add_nc_u32_e32 v66, 0x400, v25
	v_mul_f32_e32 v39, v27, v45
	v_mul_f32_e32 v28, v16, v45
	;; [unrolled: 1-line block ×10, first 2 shown]
	v_fma_f32 v39, v16, v44, -v39
	v_fmac_f32_e32 v28, v27, v44
	v_fma_f32 v27, v15, v46, -v45
	v_fmac_f32_e32 v42, v26, v46
	;; [unrolled: 2-line block ×3, first 2 shown]
	v_fma_f32 v9, v9, v60, -v51
	v_mul_f32_e32 v24, v19, v55
	v_mul_f32_e32 v45, v22, v57
	;; [unrolled: 1-line block ×5, first 2 shown]
	v_fma_f32 v44, v13, v50, -v49
	v_fmac_f32_e32 v40, v21, v50
	v_fmac_f32_e32 v41, v20, v60
	v_mul_f32_e32 v21, v23, v53
	v_mul_f32_e32 v13, v8, v53
	;; [unrolled: 1-line block ×5, first 2 shown]
	v_add_f32_e32 v51, v39, v26
	v_add_f32_e32 v53, v26, v9
	v_sub_f32_e32 v59, v26, v9
	v_fma_f32 v26, v4, v54, -v24
	v_fma_f32 v4, v6, v56, -v45
	v_fmac_f32_e32 v15, v22, v56
	v_fma_f32 v2, v2, v62, -v47
	v_fmac_f32_e32 v14, v18, v62
	v_add_f32_e32 v49, v27, v44
	v_add_f32_e32 v57, v43, v41
	v_fma_f32 v21, v8, v52, -v21
	v_fmac_f32_e32 v13, v23, v52
	v_fmac_f32_e32 v20, v19, v54
	v_add_f32_e32 v19, v4, v2
	v_add_f32_e32 v23, v15, v14
	;; [unrolled: 1-line block ×3, first 2 shown]
	v_sub_f32_e32 v50, v42, v40
	v_sub_f32_e32 v55, v43, v41
	v_fma_f32 v45, v7, v58, -v46
	v_fmac_f32_e32 v5, -0.5, v49
	v_fmac_f32_e32 v39, -0.5, v53
	v_fma_f32 v49, -0.5, v57, v28
	v_add_f32_e32 v18, v21, v4
	v_sub_f32_e32 v22, v15, v14
	v_sub_f32_e32 v24, v4, v2
	v_fmac_f32_e32 v21, -0.5, v19
	v_fma_f32 v46, -0.5, v23, v13
	v_fmac_f32_e32 v16, v17, v58
	v_add_f32_e32 v6, v48, v44
	v_add_f32_e32 v7, v51, v9
	v_add_f32_e32 v8, v3, v26
	v_add_f32_e32 v9, v26, v45
	v_fmamk_f32 v52, v50, 0x3f5db3d7, v5
	v_fmac_f32_e32 v5, 0xbf5db3d7, v50
	v_fmamk_f32 v51, v55, 0x3f5db3d7, v39
	v_fmac_f32_e32 v39, 0xbf5db3d7, v55
	v_fmamk_f32 v50, v59, 0xbf5db3d7, v49
	v_fmamk_f32 v48, v22, 0x3f5db3d7, v21
	;; [unrolled: 1-line block ×3, first 2 shown]
	v_fmac_f32_e32 v21, 0xbf5db3d7, v22
	v_sub_f32_e32 v17, v20, v16
	v_fmac_f32_e32 v49, 0x3f5db3d7, v59
	v_add_f32_e32 v53, v6, v7
	v_sub_f32_e32 v54, v6, v7
	v_add_f32_e32 v4, v8, v45
	v_fmac_f32_e32 v3, -0.5, v9
	v_add_f32_e32 v6, v18, v2
	v_mul_f32_e32 v18, 0x3f5db3d7, v50
	v_mul_f32_e32 v19, -0.5, v39
	v_fmac_f32_e32 v46, 0x3f5db3d7, v24
	v_mul_f32_e32 v8, 0x3f5db3d7, v47
	v_mul_f32_e32 v9, -0.5, v21
	v_fmamk_f32 v7, v17, 0x3f5db3d7, v3
	v_fmac_f32_e32 v3, 0xbf5db3d7, v17
	v_fmac_f32_e32 v18, 0.5, v51
	v_fmac_f32_e32 v19, 0x3f5db3d7, v49
	v_fmac_f32_e32 v8, 0.5, v48
	v_fmac_f32_e32 v9, 0x3f5db3d7, v46
	v_sub_f32_e32 v2, v4, v6
	v_add_f32_e32 v22, v52, v18
	v_add_f32_e32 v23, v5, v19
	v_sub_f32_e32 v24, v52, v18
	v_sub_f32_e32 v5, v5, v19
	;; [unrolled: 1-line block ×4, first 2 shown]
	v_mul_lo_u16 v17, 0x21c, v64
	ds_write2_b32 v25, v53, v22 offset1:90
	ds_write2_b32 v65, v23, v54 offset0:52 offset1:142
	ds_write2_b32 v66, v24, v5 offset0:104 offset1:194
	s_and_saveexec_b32 s2, s1
	s_cbranch_execz .LBB0_35
; %bb.34:
	v_mov_b32_e32 v5, 2
	v_add_f32_e32 v7, v7, v8
	v_add_f32_e32 v4, v4, v6
	;; [unrolled: 1-line block ×3, first 2 shown]
	v_lshlrev_b32_sdwa v22, v5, v12 dst_sel:DWORD dst_unused:UNUSED_PAD src0_sel:DWORD src1_sel:WORD_0
	v_lshlrev_b32_sdwa v5, v5, v17 dst_sel:DWORD dst_unused:UNUSED_PAD src0_sel:DWORD src1_sel:WORD_0
	v_add3_u32 v5, 0, v22, v5
	v_add_nc_u32_e32 v6, 0x200, v5
	v_add_nc_u32_e32 v8, 0x400, v5
	ds_write2_b32 v5, v4, v7 offset1:90
	ds_write2_b32 v6, v3, v2 offset0:52 offset1:142
	ds_write2_b32 v8, v18, v19 offset0:104 offset1:194
.LBB0_35:
	s_or_b32 exec_lo, exec_lo, s2
	v_add_nc_u32_e32 v3, 0x800, v35
	v_add_nc_u32_e32 v6, 0xd00, v35
	;; [unrolled: 1-line block ×3, first 2 shown]
	s_waitcnt lgkmcnt(0)
	s_barrier
	buffer_gl0_inv
	ds_read2_b32 v[4:5], v3 offset0:28 offset1:190
	ds_read2_b32 v[6:7], v6 offset0:32 offset1:248
	;; [unrolled: 1-line block ×3, first 2 shown]
	ds_read_b32 v22, v35
	ds_read_b32 v23, v37
	;; [unrolled: 1-line block ×3, first 2 shown]
	s_and_saveexec_b32 s2, s0
	s_cbranch_execz .LBB0_37
; %bb.36:
	ds_read_b32 v18, v35 offset:4104
	ds_read_b32 v2, v36
	ds_read_b32 v19, v35 offset:6264
.LBB0_37:
	s_or_b32 exec_lo, exec_lo, s2
	v_add_f32_e32 v3, v42, v40
	v_add_f32_e32 v42, v11, v42
	v_sub_f32_e32 v27, v27, v44
	v_add_f32_e32 v28, v28, v43
	v_mul_f32_e32 v43, 0xbf5db3d7, v51
	v_fmac_f32_e32 v11, -0.5, v3
	v_mul_f32_e32 v3, -0.5, v49
	v_add_f32_e32 v40, v42, v40
	v_add_f32_e32 v28, v28, v41
	v_fmac_f32_e32 v43, 0.5, v50
	v_fmamk_f32 v41, v27, 0xbf5db3d7, v11
	v_fmac_f32_e32 v11, 0x3f5db3d7, v27
	v_add_f32_e32 v27, v20, v16
	v_add_f32_e32 v20, v10, v20
	v_fmac_f32_e32 v3, 0xbf5db3d7, v39
	v_add_f32_e32 v39, v40, v28
	v_add_f32_e32 v42, v41, v43
	v_fmac_f32_e32 v10, -0.5, v27
	v_sub_f32_e32 v27, v26, v45
	v_add_f32_e32 v16, v20, v16
	v_add_f32_e32 v20, v13, v15
	v_mul_f32_e32 v13, 0xbf5db3d7, v48
	v_mul_f32_e32 v15, -0.5, v46
	v_fmamk_f32 v26, v27, 0xbf5db3d7, v10
	v_fmac_f32_e32 v10, 0x3f5db3d7, v27
	v_add_f32_e32 v14, v20, v14
	v_fmac_f32_e32 v13, 0.5, v47
	v_fmac_f32_e32 v15, 0xbf5db3d7, v21
	v_add_f32_e32 v44, v11, v3
	v_sub_f32_e32 v11, v11, v3
	v_sub_f32_e32 v3, v16, v14
	;; [unrolled: 1-line block ×5, first 2 shown]
	v_add_nc_u32_e32 v40, 0x200, v25
	v_sub_f32_e32 v27, v41, v43
	v_add_nc_u32_e32 v41, 0x400, v25
	s_waitcnt lgkmcnt(0)
	s_barrier
	buffer_gl0_inv
	ds_write2_b32 v25, v39, v42 offset1:90
	ds_write2_b32 v40, v44, v28 offset0:52 offset1:142
	ds_write2_b32 v41, v27, v11 offset0:104 offset1:194
	s_and_saveexec_b32 s2, s1
	s_cbranch_execz .LBB0_39
; %bb.38:
	v_mov_b32_e32 v11, 2
	v_add_f32_e32 v13, v26, v13
	v_add_f32_e32 v10, v10, v15
	v_lshlrev_b32_sdwa v12, v11, v12 dst_sel:DWORD dst_unused:UNUSED_PAD src0_sel:DWORD src1_sel:WORD_0
	v_lshlrev_b32_sdwa v11, v11, v17 dst_sel:DWORD dst_unused:UNUSED_PAD src0_sel:DWORD src1_sel:WORD_0
	v_add3_u32 v11, 0, v12, v11
	v_add_f32_e32 v12, v16, v14
	v_add_nc_u32_e32 v14, 0x200, v11
	v_add_nc_u32_e32 v15, 0x400, v11
	ds_write2_b32 v11, v12, v13 offset1:90
	ds_write2_b32 v14, v10, v3 offset0:52 offset1:142
	ds_write2_b32 v15, v20, v21 offset0:104 offset1:194
.LBB0_39:
	s_or_b32 exec_lo, exec_lo, s2
	v_add_nc_u32_e32 v10, 0x800, v35
	v_add_nc_u32_e32 v11, 0xd00, v35
	;; [unrolled: 1-line block ×3, first 2 shown]
	s_waitcnt lgkmcnt(0)
	s_barrier
	buffer_gl0_inv
	ds_read2_b32 v[12:13], v10 offset0:28 offset1:190
	ds_read2_b32 v[14:15], v11 offset0:32 offset1:248
	;; [unrolled: 1-line block ×3, first 2 shown]
	ds_read_b32 v25, v35
	ds_read_b32 v26, v37
	;; [unrolled: 1-line block ×3, first 2 shown]
	s_and_saveexec_b32 s1, s0
	s_cbranch_execz .LBB0_41
; %bb.40:
	ds_read_b32 v20, v35 offset:4104
	ds_read_b32 v3, v36
	ds_read_b32 v21, v35 offset:6264
.LBB0_41:
	s_or_b32 exec_lo, exec_lo, s1
	s_and_saveexec_b32 s1, vcc_lo
	s_cbranch_execz .LBB0_44
; %bb.42:
	v_lshlrev_b32_e32 v10, 1, v34
	v_mov_b32_e32 v11, 0
	v_mad_u64_u32 v[45:46], null, s12, v29, 0
	v_add_nc_u32_e32 v60, 0x21c, v29
	v_add_nc_u32_e32 v61, 0x438, v29
	v_lshlrev_b64 v[34:35], 3, v[10:11]
	v_lshlrev_b32_e32 v10, 1, v33
	v_mad_u64_u32 v[47:48], null, s12, v31, 0
	v_add_nc_u32_e32 v62, 0x2be, v29
	v_add_nc_u32_e32 v63, 0x4da, v29
	v_add_co_u32 v28, vcc_lo, s8, v34
	v_add_co_ci_u32_e32 v34, vcc_lo, s9, v35, vcc_lo
	v_lshlrev_b64 v[37:38], 3, v[10:11]
	v_add_co_u32 v33, vcc_lo, 0x1000, v28
	v_lshlrev_b32_e32 v10, 1, v29
	v_add_co_ci_u32_e32 v34, vcc_lo, 0, v34, vcc_lo
	v_add_co_u32 v28, vcc_lo, s8, v37
	v_add_co_ci_u32_e32 v38, vcc_lo, s9, v38, vcc_lo
	v_lshlrev_b64 v[41:42], 3, v[10:11]
	v_add_co_u32 v37, vcc_lo, 0x1000, v28
	v_add_co_ci_u32_e32 v38, vcc_lo, 0, v38, vcc_lo
	global_load_dwordx4 v[33:36], v[33:34], off offset:144
	v_add_co_u32 v10, vcc_lo, s8, v41
	global_load_dwordx4 v[37:40], v[37:38], off offset:144
	v_add_co_ci_u32_e32 v28, vcc_lo, s9, v42, vcc_lo
	v_add_co_u32 v41, vcc_lo, 0x1000, v10
	v_mul_hi_u32 v57, 0xf2b9d649, v32
	v_add_co_ci_u32_e32 v42, vcc_lo, 0, v28, vcc_lo
	v_mad_u64_u32 v[49:50], null, s12, v60, 0
	v_mad_u64_u32 v[51:52], null, s12, v61, 0
	global_load_dwordx4 v[41:44], v[41:42], off offset:144
	v_mad_u64_u32 v[53:54], null, s12, v62, 0
	v_mov_b32_e32 v10, v46
	v_mad_u64_u32 v[55:56], null, s12, v63, 0
	v_mov_b32_e32 v28, v48
	v_lshrrev_b32_e32 v48, 9, v57
	v_mad_u64_u32 v[57:58], null, s13, v29, v[10:11]
	v_mov_b32_e32 v10, v50
	v_mov_b32_e32 v46, v52
	v_mad_u64_u32 v[58:59], null, s13, v31, v[28:29]
	v_mov_b32_e32 v28, v54
	v_mov_b32_e32 v31, v56
	v_mad_u32_u24 v66, 0x438, v48, v32
	v_mad_u64_u32 v[59:60], null, s13, v60, v[10:11]
	v_mad_u64_u32 v[60:61], null, s13, v61, v[46:47]
	;; [unrolled: 1-line block ×5, first 2 shown]
	v_add_nc_u32_e32 v67, 0x21c, v66
	v_add_nc_u32_e32 v68, 0x438, v66
	v_mov_b32_e32 v46, v57
	v_mov_b32_e32 v48, v58
	;; [unrolled: 1-line block ×3, first 2 shown]
	v_mad_u64_u32 v[57:58], null, s12, v67, 0
	v_mad_u64_u32 v[64:65], null, s12, v68, 0
	v_mov_b32_e32 v52, v60
	v_mov_b32_e32 v54, v61
	;; [unrolled: 1-line block ×4, first 2 shown]
	v_lshlrev_b64 v[31:32], 3, v[49:50]
	v_lshlrev_b64 v[49:50], 3, v[51:52]
	;; [unrolled: 1-line block ×4, first 2 shown]
	v_mad_u64_u32 v[55:56], null, s13, v66, v[10:11]
	v_mov_b32_e32 v10, v58
	v_mov_b32_e32 v28, v65
	v_lshlrev_b64 v[45:46], 3, v[45:46]
	v_add_co_u32 v0, vcc_lo, s14, v0
	v_mad_u64_u32 v[58:59], null, s13, v67, v[10:11]
	v_mad_u64_u32 v[59:60], null, s13, v68, v[28:29]
	v_add_co_ci_u32_e32 v1, vcc_lo, s15, v1, vcc_lo
	v_lshlrev_b64 v[47:48], 3, v[47:48]
	v_mov_b32_e32 v63, v55
	v_add_co_u32 v45, vcc_lo, v0, v45
	v_add_co_ci_u32_e32 v46, vcc_lo, v1, v46, vcc_lo
	v_lshlrev_b64 v[55:56], 3, v[62:63]
	v_add_co_u32 v47, vcc_lo, v0, v47
	v_add_co_ci_u32_e32 v48, vcc_lo, v1, v48, vcc_lo
	v_add_co_u32 v31, vcc_lo, v0, v31
	v_add_co_ci_u32_e32 v32, vcc_lo, v1, v32, vcc_lo
	v_add_co_u32 v49, vcc_lo, v0, v49
	v_add_co_ci_u32_e32 v50, vcc_lo, v1, v50, vcc_lo
	v_add_co_u32 v51, vcc_lo, v0, v51
	v_mov_b32_e32 v65, v59
	v_add_co_ci_u32_e32 v52, vcc_lo, v1, v52, vcc_lo
	v_add_co_u32 v53, vcc_lo, v0, v53
	v_lshlrev_b64 v[57:58], 3, v[57:58]
	v_add_co_ci_u32_e32 v54, vcc_lo, v1, v54, vcc_lo
	v_lshlrev_b64 v[59:60], 3, v[64:65]
	v_add_co_u32 v55, vcc_lo, v0, v55
	v_add_co_ci_u32_e32 v56, vcc_lo, v1, v56, vcc_lo
	v_add_co_u32 v57, vcc_lo, v0, v57
	v_add_co_ci_u32_e32 v58, vcc_lo, v1, v58, vcc_lo
	v_add_co_u32 v59, vcc_lo, v0, v59
	v_add_co_ci_u32_e32 v60, vcc_lo, v1, v60, vcc_lo
	s_waitcnt vmcnt(2) lgkmcnt(4)
	v_mul_f32_e32 v10, v14, v34
	s_waitcnt lgkmcnt(3)
	v_mul_f32_e32 v28, v17, v36
	v_mul_f32_e32 v34, v6, v34
	;; [unrolled: 1-line block ×3, first 2 shown]
	v_fma_f32 v6, v6, v33, -v10
	v_fma_f32 v10, v9, v35, -v28
	v_fmac_f32_e32 v34, v14, v33
	v_fmac_f32_e32 v36, v17, v35
	s_waitcnt vmcnt(1)
	v_mul_f32_e32 v9, v13, v38
	v_mul_f32_e32 v14, v16, v40
	;; [unrolled: 1-line block ×4, first 2 shown]
	v_add_f32_e32 v35, v34, v36
	v_fma_f32 v62, v5, v37, -v9
	v_fma_f32 v63, v8, v39, -v14
	v_fmac_f32_e32 v17, v13, v37
	v_fmac_f32_e32 v28, v16, v39
	s_waitcnt vmcnt(0)
	v_mul_f32_e32 v13, v12, v42
	v_mul_f32_e32 v14, v15, v44
	;; [unrolled: 1-line block ×4, first 2 shown]
	v_add_f32_e32 v40, v6, v10
	v_sub_f32_e32 v33, v6, v10
	s_waitcnt lgkmcnt(0)
	v_add_f32_e32 v38, v27, v34
	v_add_f32_e32 v61, v24, v6
	v_fma_f32 v6, -0.5, v35, v27
	v_add_f32_e32 v27, v62, v63
	v_fma_f32 v4, v4, v41, -v13
	v_fma_f32 v7, v7, v43, -v14
	v_fmac_f32_e32 v37, v12, v41
	v_fmac_f32_e32 v39, v15, v43
	v_fma_f32 v5, -0.5, v40, v24
	v_add_f32_e32 v16, v17, v28
	v_add_f32_e32 v24, v26, v17
	v_sub_f32_e32 v34, v34, v36
	v_add_f32_e32 v9, v38, v36
	v_add_f32_e32 v36, v23, v62
	v_fma_f32 v14, -0.5, v27, v23
	v_add_f32_e32 v23, v37, v39
	v_add_f32_e32 v27, v4, v7
	v_sub_f32_e32 v35, v17, v28
	v_fma_f32 v15, -0.5, v16, v26
	v_add_f32_e32 v17, v24, v28
	v_sub_f32_e32 v24, v4, v7
	v_add_f32_e32 v26, v25, v37
	v_add_f32_e32 v4, v22, v4
	v_sub_f32_e32 v28, v37, v39
	v_fma_f32 v23, -0.5, v23, v25
	v_fma_f32 v22, -0.5, v27, v22
	v_add_f32_e32 v8, v61, v10
	v_sub_f32_e32 v10, v62, v63
	v_add_f32_e32 v27, v26, v39
	v_add_f32_e32 v26, v4, v7
	v_fmamk_f32 v13, v33, 0x3f5db3d7, v6
	v_fmac_f32_e32 v6, 0xbf5db3d7, v33
	v_fmamk_f32 v12, v34, 0xbf5db3d7, v5
	v_fmac_f32_e32 v5, 0x3f5db3d7, v34
	;; [unrolled: 2-line block ×4, first 2 shown]
	v_add_f32_e32 v16, v36, v63
	v_fmamk_f32 v25, v10, 0x3f5db3d7, v15
	v_fmac_f32_e32 v15, 0xbf5db3d7, v10
	v_fmamk_f32 v24, v35, 0xbf5db3d7, v14
	v_fmac_f32_e32 v14, 0x3f5db3d7, v35
	global_store_dwordx2 v[45:46], v[26:27], off
	global_store_dwordx2 v[31:32], v[22:23], off
	;; [unrolled: 1-line block ×9, first 2 shown]
	s_and_b32 exec_lo, exec_lo, s0
	s_cbranch_execz .LBB0_44
; %bb.43:
	v_subrev_nc_u32_e32 v4, 54, v29
	v_add_nc_u32_e32 v14, 0x1e6, v29
	v_add_nc_u32_e32 v16, 0x402, v29
	;; [unrolled: 1-line block ×3, first 2 shown]
	v_cndmask_b32_e64 v4, v4, v30, s0
	v_mad_u64_u32 v[8:9], null, s12, v14, 0
	v_mad_u64_u32 v[12:13], null, s12, v17, 0
	v_lshlrev_b32_e32 v10, 1, v4
	v_lshlrev_b64 v[4:5], 3, v[10:11]
	v_mad_u64_u32 v[10:11], null, s12, v16, 0
	v_add_co_u32 v4, vcc_lo, s8, v4
	v_add_co_ci_u32_e32 v5, vcc_lo, s9, v5, vcc_lo
	v_mad_u64_u32 v[14:15], null, s13, v14, v[9:10]
	v_add_co_u32 v4, vcc_lo, 0x1000, v4
	v_add_co_ci_u32_e32 v5, vcc_lo, 0, v5, vcc_lo
	v_mad_u64_u32 v[15:16], null, s13, v16, v[11:12]
	v_mad_u64_u32 v[16:17], null, s13, v17, v[13:14]
	global_load_dwordx4 v[4:7], v[4:5], off offset:144
	v_mov_b32_e32 v9, v14
	v_mov_b32_e32 v11, v15
	v_lshlrev_b64 v[8:9], 3, v[8:9]
	v_mov_b32_e32 v13, v16
	v_lshlrev_b64 v[10:11], 3, v[10:11]
	v_lshlrev_b64 v[12:13], 3, v[12:13]
	v_add_co_u32 v8, vcc_lo, v0, v8
	v_add_co_ci_u32_e32 v9, vcc_lo, v1, v9, vcc_lo
	v_add_co_u32 v10, vcc_lo, v0, v10
	v_add_co_ci_u32_e32 v11, vcc_lo, v1, v11, vcc_lo
	;; [unrolled: 2-line block ×3, first 2 shown]
	s_waitcnt vmcnt(0)
	v_mul_f32_e32 v14, v20, v5
	v_mul_f32_e32 v5, v18, v5
	;; [unrolled: 1-line block ×4, first 2 shown]
	v_fma_f32 v14, v18, v4, -v14
	v_fmac_f32_e32 v5, v20, v4
	v_fma_f32 v4, v19, v6, -v15
	v_fmac_f32_e32 v7, v21, v6
	v_add_f32_e32 v12, v2, v14
	v_add_f32_e32 v6, v14, v4
	;; [unrolled: 1-line block ×3, first 2 shown]
	v_sub_f32_e32 v15, v5, v7
	v_add_f32_e32 v5, v3, v5
	v_sub_f32_e32 v14, v14, v4
	v_fmac_f32_e32 v2, -0.5, v6
	v_fmac_f32_e32 v3, -0.5, v13
	v_add_f32_e32 v4, v12, v4
	v_add_f32_e32 v5, v5, v7
	v_fmamk_f32 v6, v15, 0x3f5db3d7, v2
	v_fmamk_f32 v7, v14, 0xbf5db3d7, v3
	v_fmac_f32_e32 v2, 0xbf5db3d7, v15
	v_fmac_f32_e32 v3, 0x3f5db3d7, v14
	global_store_dwordx2 v[8:9], v[4:5], off
	global_store_dwordx2 v[10:11], v[6:7], off
	;; [unrolled: 1-line block ×3, first 2 shown]
.LBB0_44:
	s_endpgm
	.section	.rodata,"a",@progbits
	.p2align	6, 0x0
	.amdhsa_kernel fft_rtc_fwd_len1620_factors_10_3_3_6_3_wgs_162_tpt_162_halfLds_sp_ip_CI_sbrr_dirReg
		.amdhsa_group_segment_fixed_size 0
		.amdhsa_private_segment_fixed_size 0
		.amdhsa_kernarg_size 88
		.amdhsa_user_sgpr_count 6
		.amdhsa_user_sgpr_private_segment_buffer 1
		.amdhsa_user_sgpr_dispatch_ptr 0
		.amdhsa_user_sgpr_queue_ptr 0
		.amdhsa_user_sgpr_kernarg_segment_ptr 1
		.amdhsa_user_sgpr_dispatch_id 0
		.amdhsa_user_sgpr_flat_scratch_init 0
		.amdhsa_user_sgpr_private_segment_size 0
		.amdhsa_wavefront_size32 1
		.amdhsa_uses_dynamic_stack 0
		.amdhsa_system_sgpr_private_segment_wavefront_offset 0
		.amdhsa_system_sgpr_workgroup_id_x 1
		.amdhsa_system_sgpr_workgroup_id_y 0
		.amdhsa_system_sgpr_workgroup_id_z 0
		.amdhsa_system_sgpr_workgroup_info 0
		.amdhsa_system_vgpr_workitem_id 0
		.amdhsa_next_free_vgpr 69
		.amdhsa_next_free_sgpr 23
		.amdhsa_reserve_vcc 1
		.amdhsa_reserve_flat_scratch 0
		.amdhsa_float_round_mode_32 0
		.amdhsa_float_round_mode_16_64 0
		.amdhsa_float_denorm_mode_32 3
		.amdhsa_float_denorm_mode_16_64 3
		.amdhsa_dx10_clamp 1
		.amdhsa_ieee_mode 1
		.amdhsa_fp16_overflow 0
		.amdhsa_workgroup_processor_mode 1
		.amdhsa_memory_ordered 1
		.amdhsa_forward_progress 0
		.amdhsa_shared_vgpr_count 0
		.amdhsa_exception_fp_ieee_invalid_op 0
		.amdhsa_exception_fp_denorm_src 0
		.amdhsa_exception_fp_ieee_div_zero 0
		.amdhsa_exception_fp_ieee_overflow 0
		.amdhsa_exception_fp_ieee_underflow 0
		.amdhsa_exception_fp_ieee_inexact 0
		.amdhsa_exception_int_div_zero 0
	.end_amdhsa_kernel
	.text
.Lfunc_end0:
	.size	fft_rtc_fwd_len1620_factors_10_3_3_6_3_wgs_162_tpt_162_halfLds_sp_ip_CI_sbrr_dirReg, .Lfunc_end0-fft_rtc_fwd_len1620_factors_10_3_3_6_3_wgs_162_tpt_162_halfLds_sp_ip_CI_sbrr_dirReg
                                        ; -- End function
	.section	.AMDGPU.csdata,"",@progbits
; Kernel info:
; codeLenInByte = 8432
; NumSgprs: 25
; NumVgprs: 69
; ScratchSize: 0
; MemoryBound: 0
; FloatMode: 240
; IeeeMode: 1
; LDSByteSize: 0 bytes/workgroup (compile time only)
; SGPRBlocks: 3
; VGPRBlocks: 8
; NumSGPRsForWavesPerEU: 25
; NumVGPRsForWavesPerEU: 69
; Occupancy: 12
; WaveLimiterHint : 1
; COMPUTE_PGM_RSRC2:SCRATCH_EN: 0
; COMPUTE_PGM_RSRC2:USER_SGPR: 6
; COMPUTE_PGM_RSRC2:TRAP_HANDLER: 0
; COMPUTE_PGM_RSRC2:TGID_X_EN: 1
; COMPUTE_PGM_RSRC2:TGID_Y_EN: 0
; COMPUTE_PGM_RSRC2:TGID_Z_EN: 0
; COMPUTE_PGM_RSRC2:TIDIG_COMP_CNT: 0
	.text
	.p2alignl 6, 3214868480
	.fill 48, 4, 3214868480
	.type	__hip_cuid_b8c25a38bf2a3458,@object ; @__hip_cuid_b8c25a38bf2a3458
	.section	.bss,"aw",@nobits
	.globl	__hip_cuid_b8c25a38bf2a3458
__hip_cuid_b8c25a38bf2a3458:
	.byte	0                               ; 0x0
	.size	__hip_cuid_b8c25a38bf2a3458, 1

	.ident	"AMD clang version 19.0.0git (https://github.com/RadeonOpenCompute/llvm-project roc-6.4.0 25133 c7fe45cf4b819c5991fe208aaa96edf142730f1d)"
	.section	".note.GNU-stack","",@progbits
	.addrsig
	.addrsig_sym __hip_cuid_b8c25a38bf2a3458
	.amdgpu_metadata
---
amdhsa.kernels:
  - .args:
      - .actual_access:  read_only
        .address_space:  global
        .offset:         0
        .size:           8
        .value_kind:     global_buffer
      - .offset:         8
        .size:           8
        .value_kind:     by_value
      - .actual_access:  read_only
        .address_space:  global
        .offset:         16
        .size:           8
        .value_kind:     global_buffer
      - .actual_access:  read_only
        .address_space:  global
        .offset:         24
        .size:           8
        .value_kind:     global_buffer
      - .offset:         32
        .size:           8
        .value_kind:     by_value
      - .actual_access:  read_only
        .address_space:  global
        .offset:         40
        .size:           8
        .value_kind:     global_buffer
      - .actual_access:  read_only
        .address_space:  global
        .offset:         48
        .size:           8
        .value_kind:     global_buffer
      - .offset:         56
        .size:           4
        .value_kind:     by_value
      - .actual_access:  read_only
        .address_space:  global
        .offset:         64
        .size:           8
        .value_kind:     global_buffer
      - .actual_access:  read_only
        .address_space:  global
        .offset:         72
        .size:           8
        .value_kind:     global_buffer
      - .address_space:  global
        .offset:         80
        .size:           8
        .value_kind:     global_buffer
    .group_segment_fixed_size: 0
    .kernarg_segment_align: 8
    .kernarg_segment_size: 88
    .language:       OpenCL C
    .language_version:
      - 2
      - 0
    .max_flat_workgroup_size: 162
    .name:           fft_rtc_fwd_len1620_factors_10_3_3_6_3_wgs_162_tpt_162_halfLds_sp_ip_CI_sbrr_dirReg
    .private_segment_fixed_size: 0
    .sgpr_count:     25
    .sgpr_spill_count: 0
    .symbol:         fft_rtc_fwd_len1620_factors_10_3_3_6_3_wgs_162_tpt_162_halfLds_sp_ip_CI_sbrr_dirReg.kd
    .uniform_work_group_size: 1
    .uses_dynamic_stack: false
    .vgpr_count:     69
    .vgpr_spill_count: 0
    .wavefront_size: 32
    .workgroup_processor_mode: 1
amdhsa.target:   amdgcn-amd-amdhsa--gfx1030
amdhsa.version:
  - 1
  - 2
...

	.end_amdgpu_metadata
